;; amdgpu-corpus repo=zjin-lcf/HeCBench kind=compiled arch=gfx1100 opt=O3
	.text
	.amdgcn_target "amdgcn-amd-amdhsa--gfx1100"
	.amdhsa_code_object_version 6
	.protected	_Z24ldpc_cnp_kernel_1st_iterPKfPfS1_PKcPK9h_element ; -- Begin function _Z24ldpc_cnp_kernel_1st_iterPKfPfS1_PKcPK9h_element
	.globl	_Z24ldpc_cnp_kernel_1st_iterPKfPfS1_PKcPK9h_element
	.p2align	8
	.type	_Z24ldpc_cnp_kernel_1st_iterPKfPfS1_PKcPK9h_element,@function
_Z24ldpc_cnp_kernel_1st_iterPKfPfS1_PKcPK9h_element: ; @_Z24ldpc_cnp_kernel_1st_iterPKfPfS1_PKcPK9h_element
; %bb.0:
	s_load_b256 s[4:11], s[0:1], 0x0
	v_mov_b32_e32 v1, 0
	s_mov_b32 s2, s15
	s_ashr_i32 s15, s14, 31
	v_bfe_u32 v3, v0, 10, 10
	v_and_b32_e32 v0, 0x3ff, v0
	s_delay_alu instid0(VALU_DEP_2)
	v_lshl_add_u32 v3, s2, 1, v3
	s_waitcnt lgkmcnt(0)
	s_add_u32 s10, s10, s14
	s_addc_u32 s11, s11, s15
	global_load_i8 v2, v1, s[10:11]
	s_load_b64 s[10:11], s[0:1], 0x20
	s_mov_b32 s1, 0
	s_waitcnt vmcnt(0)
	v_cmp_gt_i32_e32 vcc_lo, 1, v2
	v_readfirstlane_b32 s12, v2
	v_cmp_lt_i32_e64 s0, 0, v2
	v_mov_b32_e32 v2, 0x447a0000
	s_cbranch_vccnz .LBB0_11
; %bb.1:
	v_mul_lo_u32 v5, 0x900, v3
	s_lshl_b64 s[2:3], s[14:15], 2
	v_dual_mov_b32 v6, 0 :: v_dual_mov_b32 v7, 1.0
	s_waitcnt lgkmcnt(0)
	s_add_u32 s2, s2, s10
	v_dual_mov_b32 v2, 0x447a0000 :: v_dual_mov_b32 v9, 0x447a0000
	v_mov_b32_e32 v8, 0
	s_addc_u32 s3, s3, s11
	s_add_u32 s2, s2, 1
	s_addc_u32 s3, s3, 0
.LBB0_2:                                ; =>This Inner Loop Header: Depth=1
	global_load_u16 v4, v1, s[2:3]
	s_waitcnt vmcnt(0)
	v_lshrrev_b16 v10, 8, v4
	v_bfe_i32 v4, v4, 0, 8
	s_delay_alu instid0(VALU_DEP_2) | instskip(NEXT) | instid1(VALU_DEP_2)
	v_bfe_i32 v10, v10, 0, 8
	v_mul_lo_u32 v4, 0x60, v4
	s_delay_alu instid0(VALU_DEP_2) | instskip(NEXT) | instid1(VALU_DEP_1)
	v_add_nc_u32_e32 v10, v0, v10
	v_add_nc_u32_e32 v11, 0xffffffa0, v10
	v_cmp_lt_i32_e32 vcc_lo, 0x5f, v10
	s_delay_alu instid0(VALU_DEP_2) | instskip(NEXT) | instid1(VALU_DEP_1)
	v_cndmask_b32_e32 v10, v10, v11, vcc_lo
	v_add3_u32 v10, v4, v5, v10
	s_delay_alu instid0(VALU_DEP_1) | instskip(NEXT) | instid1(VALU_DEP_1)
	v_ashrrev_i32_e32 v11, 31, v10
	v_lshlrev_b64 v[10:11], 2, v[10:11]
	s_delay_alu instid0(VALU_DEP_1) | instskip(NEXT) | instid1(VALU_DEP_2)
	v_add_co_u32 v10, vcc_lo, s4, v10
	v_add_co_ci_u32_e32 v11, vcc_lo, s5, v11, vcc_lo
	global_load_b32 v10, v[10:11], off
	s_waitcnt vmcnt(0)
	v_and_b32_e32 v11, 0x7fffffff, v10
	v_cmp_nlt_f32_e64 s13, |v10|, v9
	s_delay_alu instid0(VALU_DEP_1) | instskip(NEXT) | instid1(SALU_CYCLE_1)
	s_and_saveexec_b32 s16, s13
	s_xor_b32 s13, exec_lo, s16
	s_cbranch_execz .LBB0_6
; %bb.3:                                ;   in Loop: Header=BB0_2 Depth=1
	s_mov_b32 s16, exec_lo
	v_cmpx_lt_f32_e64 |v10|, v2
; %bb.4:                                ;   in Loop: Header=BB0_2 Depth=1
	v_mov_b32_e32 v2, v11
; %bb.5:                                ;   in Loop: Header=BB0_2 Depth=1
	s_or_b32 exec_lo, exec_lo, s16
                                        ; implicit-def: $vgpr11
.LBB0_6:                                ;   in Loop: Header=BB0_2 Depth=1
	s_or_saveexec_b32 s13, s13
	v_mov_b32_e32 v4, v9
	s_xor_b32 exec_lo, exec_lo, s13
; %bb.7:                                ;   in Loop: Header=BB0_2 Depth=1
	v_mov_b32_e32 v8, s1
	v_mov_b32_e32 v4, v11
	v_mov_b32_e32 v2, v9
; %bb.8:                                ;   in Loop: Header=BB0_2 Depth=1
	s_or_b32 exec_lo, exec_lo, s13
	v_cmp_gt_f32_e32 vcc_lo, 0, v10
	v_cndmask_b32_e64 v9, 0, 1, vcc_lo
	v_cndmask_b32_e64 v7, v7, -v7, vcc_lo
	s_delay_alu instid0(VALU_DEP_2)
	v_lshlrev_b32_e32 v9, s1, v9
	s_add_i32 s1, s1, 1
	s_add_u32 s2, s2, 48
	s_addc_u32 s3, s3, 0
	s_cmp_eq_u32 s12, s1
	v_or_b32_e32 v6, v6, v9
	s_cbranch_scc1 .LBB0_10
; %bb.9:                                ;   in Loop: Header=BB0_2 Depth=1
	v_mov_b32_e32 v9, v4
	s_branch .LBB0_2
.LBB0_10:
	s_delay_alu instid0(VALU_DEP_1)
	v_bfe_i32 v1, v6, 0, 8
	v_mul_f32_e32 v5, 0x3f400000, v7
	v_bfe_i32 v6, v8, 0, 8
	s_and_not1_b32 vcc_lo, exec_lo, s0
	s_cbranch_vccz .LBB0_12
	s_branch .LBB0_14
.LBB0_11:
	v_dual_mov_b32 v5, 0x3f400000 :: v_dual_mov_b32 v6, 0
	v_mov_b32_e32 v4, 0x447a0000
	s_and_not1_b32 vcc_lo, exec_lo, s0
	s_cbranch_vccnz .LBB0_14
.LBB0_12:
	v_mul_lo_u32 v3, 0x6c00, v3
	s_lshl_b64 s[0:1], s[14:15], 2
	s_mul_i32 s2, s14, 0x60
	s_waitcnt lgkmcnt(0)
	s_add_u32 s0, s0, s10
	s_addc_u32 s1, s1, s11
	s_add_u32 s0, s0, 1
	s_addc_u32 s1, s1, 0
	v_add3_u32 v0, s2, v0, v3
	v_mov_b32_e32 v3, 0
	s_mov_b32 s2, 0
	s_set_inst_prefetch_distance 0x1
	.p2align	6
.LBB0_13:                               ; =>This Inner Loop Header: Depth=1
	global_load_i8 v9, v3, s[0:1]
	v_lshrrev_b32_e32 v7, s2, v1
	v_cmp_eq_u32_e32 vcc_lo, s2, v6
	s_add_i32 s2, s2, 1
	s_add_u32 s0, s0, 48
	s_addc_u32 s1, s1, 0
	v_lshlrev_b16 v7, 1, v7
	v_cndmask_b32_e32 v10, v4, v2, vcc_lo
	s_cmp_eq_u32 s12, s2
	s_delay_alu instid0(VALU_DEP_2) | instskip(NEXT) | instid1(VALU_DEP_1)
	v_and_b32_e32 v7, 2, v7
	v_sub_nc_u16 v7, 1, v7
	s_delay_alu instid0(VALU_DEP_1) | instskip(NEXT) | instid1(VALU_DEP_1)
	v_bfe_i32 v7, v7, 0, 16
	v_cvt_f32_i32_e32 v7, v7
	s_delay_alu instid0(VALU_DEP_1) | instskip(NEXT) | instid1(VALU_DEP_1)
	v_mul_f32_e32 v11, v5, v7
	v_mul_f32_e32 v11, v10, v11
	s_waitcnt vmcnt(0)
	v_mad_u64_u32 v[7:8], null, 0x480, v9, v[0:1]
	s_delay_alu instid0(VALU_DEP_1) | instskip(NEXT) | instid1(VALU_DEP_1)
	v_ashrrev_i32_e32 v8, 31, v7
	v_lshlrev_b64 v[7:8], 2, v[7:8]
	s_delay_alu instid0(VALU_DEP_1) | instskip(NEXT) | instid1(VALU_DEP_2)
	v_add_co_u32 v9, vcc_lo, s6, v7
	v_add_co_ci_u32_e32 v10, vcc_lo, s7, v8, vcc_lo
	v_add_co_u32 v7, vcc_lo, s8, v7
	v_add_co_ci_u32_e32 v8, vcc_lo, s9, v8, vcc_lo
	global_store_b32 v[9:10], v11, off
	global_store_b32 v[7:8], v11, off
	s_cbranch_scc0 .LBB0_13
.LBB0_14:
	s_set_inst_prefetch_distance 0x2
	s_nop 0
	s_sendmsg sendmsg(MSG_DEALLOC_VGPRS)
	s_endpgm
	.section	.rodata,"a",@progbits
	.p2align	6, 0x0
	.amdhsa_kernel _Z24ldpc_cnp_kernel_1st_iterPKfPfS1_PKcPK9h_element
		.amdhsa_group_segment_fixed_size 0
		.amdhsa_private_segment_fixed_size 0
		.amdhsa_kernarg_size 40
		.amdhsa_user_sgpr_count 14
		.amdhsa_user_sgpr_dispatch_ptr 0
		.amdhsa_user_sgpr_queue_ptr 0
		.amdhsa_user_sgpr_kernarg_segment_ptr 1
		.amdhsa_user_sgpr_dispatch_id 0
		.amdhsa_user_sgpr_private_segment_size 0
		.amdhsa_wavefront_size32 1
		.amdhsa_uses_dynamic_stack 0
		.amdhsa_enable_private_segment 0
		.amdhsa_system_sgpr_workgroup_id_x 1
		.amdhsa_system_sgpr_workgroup_id_y 1
		.amdhsa_system_sgpr_workgroup_id_z 0
		.amdhsa_system_sgpr_workgroup_info 0
		.amdhsa_system_vgpr_workitem_id 1
		.amdhsa_next_free_vgpr 12
		.amdhsa_next_free_sgpr 17
		.amdhsa_reserve_vcc 1
		.amdhsa_float_round_mode_32 0
		.amdhsa_float_round_mode_16_64 0
		.amdhsa_float_denorm_mode_32 3
		.amdhsa_float_denorm_mode_16_64 3
		.amdhsa_dx10_clamp 1
		.amdhsa_ieee_mode 1
		.amdhsa_fp16_overflow 0
		.amdhsa_workgroup_processor_mode 1
		.amdhsa_memory_ordered 1
		.amdhsa_forward_progress 0
		.amdhsa_shared_vgpr_count 0
		.amdhsa_exception_fp_ieee_invalid_op 0
		.amdhsa_exception_fp_denorm_src 0
		.amdhsa_exception_fp_ieee_div_zero 0
		.amdhsa_exception_fp_ieee_overflow 0
		.amdhsa_exception_fp_ieee_underflow 0
		.amdhsa_exception_fp_ieee_inexact 0
		.amdhsa_exception_int_div_zero 0
	.end_amdhsa_kernel
	.text
.Lfunc_end0:
	.size	_Z24ldpc_cnp_kernel_1st_iterPKfPfS1_PKcPK9h_element, .Lfunc_end0-_Z24ldpc_cnp_kernel_1st_iterPKfPfS1_PKcPK9h_element
                                        ; -- End function
	.section	.AMDGPU.csdata,"",@progbits
; Kernel info:
; codeLenInByte = 764
; NumSgprs: 19
; NumVgprs: 12
; ScratchSize: 0
; MemoryBound: 0
; FloatMode: 240
; IeeeMode: 1
; LDSByteSize: 0 bytes/workgroup (compile time only)
; SGPRBlocks: 2
; VGPRBlocks: 1
; NumSGPRsForWavesPerEU: 19
; NumVGPRsForWavesPerEU: 12
; Occupancy: 16
; WaveLimiterHint : 1
; COMPUTE_PGM_RSRC2:SCRATCH_EN: 0
; COMPUTE_PGM_RSRC2:USER_SGPR: 14
; COMPUTE_PGM_RSRC2:TRAP_HANDLER: 0
; COMPUTE_PGM_RSRC2:TGID_X_EN: 1
; COMPUTE_PGM_RSRC2:TGID_Y_EN: 1
; COMPUTE_PGM_RSRC2:TGID_Z_EN: 0
; COMPUTE_PGM_RSRC2:TIDIG_COMP_CNT: 1
	.text
	.protected	_Z15ldpc_cnp_kernelPKfPfS1_PKcPK9h_element ; -- Begin function _Z15ldpc_cnp_kernelPKfPfS1_PKcPK9h_element
	.globl	_Z15ldpc_cnp_kernelPKfPfS1_PKcPK9h_element
	.p2align	8
	.type	_Z15ldpc_cnp_kernelPKfPfS1_PKcPK9h_element,@function
_Z15ldpc_cnp_kernelPKfPfS1_PKcPK9h_element: ; @_Z15ldpc_cnp_kernelPKfPfS1_PKcPK9h_element
; %bb.0:
	s_clause 0x1
	s_load_b32 s3, s[0:1], 0x34
	s_load_b256 s[4:11], s[0:1], 0x0
	v_dual_mov_b32 v7, 0 :: v_dual_mov_b32 v2, 0x447a0000
	s_mov_b32 s2, s15
	s_ashr_i32 s15, s14, 31
	v_bfe_u32 v1, v0, 10, 10
	v_and_b32_e32 v9, 0x3ff, v0
	s_delay_alu instid0(VALU_DEP_2) | instskip(NEXT) | instid1(VALU_DEP_1)
	v_lshl_add_u32 v3, s2, 1, v1
	v_mul_lo_u32 v5, 0x6c00, v3
	s_waitcnt lgkmcnt(0)
	s_and_b32 s12, s3, 0xffff
	s_add_u32 s10, s10, s14
	s_addc_u32 s11, s11, s15
	s_load_b64 s[2:3], s[0:1], 0x20
	global_load_u8 v4, v7, s[10:11]
	s_mul_i32 s1, s14, 0x60
	v_mad_u32_u24 v1, v1, s12, v9
	v_add3_u32 v0, s1, v9, v5
	s_waitcnt vmcnt(0)
	v_readfirstlane_b32 s0, v4
	v_and_b32_e32 v4, 0xff, v4
	s_delay_alu instid0(VALU_DEP_2)
	s_sext_i32_i8 s16, s0
	s_mov_b32 s0, 0
	s_cmp_gt_i32 s16, 0
	s_cselect_b32 s1, -1, 0
	s_cmp_lt_i32 s16, 1
	s_cbranch_scc1 .LBB1_17
; %bb.1:
	v_mul_lo_u32 v8, 0x900, v3
	v_cmp_eq_u16_e32 vcc_lo, 1, v4
	v_dual_mov_b32 v3, 0x447a0000 :: v_dual_mov_b32 v6, 0
	s_cbranch_vccnz .LBB1_18
; %bb.2:
	s_lshl_b64 s[12:13], s[14:15], 2
	s_and_b32 s17, s16, 0x7e
	s_add_i32 s10, s14, 12
	v_lshl_add_u32 v10, v1, 2, 0
	s_waitcnt lgkmcnt(0)
	s_add_u32 s0, s12, s2
	v_dual_mov_b32 v7, 0 :: v_dual_mov_b32 v2, 0x447a0000
	v_dual_mov_b32 v5, 1.0 :: v_dual_mov_b32 v6, 0
	v_mov_b32_e32 v11, 0
	v_mov_b32_e32 v3, 0x447a0000
	s_addc_u32 s11, s13, s3
	s_add_u32 s12, s0, 1
	s_addc_u32 s13, s11, 0
	s_mov_b32 s18, 1
.LBB1_3:                                ; =>This Inner Loop Header: Depth=1
	global_load_u16 v12, v11, s[12:13]
	s_waitcnt vmcnt(0)
	v_lshrrev_b16 v13, 8, v12
	v_bfe_i32 v15, v12, 0, 8
	s_delay_alu instid0(VALU_DEP_2) | instskip(NEXT) | instid1(VALU_DEP_2)
	v_bfe_i32 v13, v13, 0, 8
	v_mul_lo_u32 v17, 0x60, v15
	s_delay_alu instid0(VALU_DEP_2) | instskip(SKIP_1) | instid1(VALU_DEP_2)
	v_add_nc_u32_e32 v14, v9, v13
	v_mad_u64_u32 v[12:13], null, 0x480, v15, v[0:1]
	v_add_nc_u32_e32 v16, 0xffffffa0, v14
	v_cmp_lt_i32_e32 vcc_lo, 0x5f, v14
	s_delay_alu instid0(VALU_DEP_2) | instskip(NEXT) | instid1(VALU_DEP_1)
	v_cndmask_b32_e32 v13, v14, v16, vcc_lo
	v_add3_u32 v14, v17, v8, v13
	v_ashrrev_i32_e32 v13, 31, v12
	s_delay_alu instid0(VALU_DEP_2) | instskip(NEXT) | instid1(VALU_DEP_2)
	v_ashrrev_i32_e32 v15, 31, v14
	v_lshlrev_b64 v[12:13], 2, v[12:13]
	s_delay_alu instid0(VALU_DEP_2) | instskip(NEXT) | instid1(VALU_DEP_2)
	v_lshlrev_b64 v[14:15], 2, v[14:15]
	v_add_co_u32 v12, vcc_lo, s8, v12
	s_delay_alu instid0(VALU_DEP_3) | instskip(NEXT) | instid1(VALU_DEP_3)
	v_add_co_ci_u32_e32 v13, vcc_lo, s9, v13, vcc_lo
	v_add_co_u32 v14, vcc_lo, s4, v14
	s_delay_alu instid0(VALU_DEP_4)
	v_add_co_ci_u32_e32 v15, vcc_lo, s5, v15, vcc_lo
	global_load_b32 v13, v[12:13], off
	global_load_b32 v12, v[14:15], off
	s_waitcnt vmcnt(1)
	ds_store_b32 v10, v13
	s_waitcnt vmcnt(0)
	v_sub_f32_e32 v12, v12, v13
	s_delay_alu instid0(VALU_DEP_1) | instskip(SKIP_1) | instid1(VALU_DEP_1)
	v_and_b32_e32 v14, 0x7fffffff, v12
	v_cmp_nlt_f32_e64 s0, |v12|, v3
	s_and_saveexec_b32 s11, s0
	s_delay_alu instid0(SALU_CYCLE_1)
	s_xor_b32 s0, exec_lo, s11
	s_cbranch_execz .LBB1_7
; %bb.4:                                ;   in Loop: Header=BB1_3 Depth=1
	s_mov_b32 s11, exec_lo
	v_cmpx_lt_f32_e64 |v12|, v2
; %bb.5:                                ;   in Loop: Header=BB1_3 Depth=1
	v_mov_b32_e32 v2, v14
; %bb.6:                                ;   in Loop: Header=BB1_3 Depth=1
	s_or_b32 exec_lo, exec_lo, s11
                                        ; implicit-def: $vgpr14
.LBB1_7:                                ;   in Loop: Header=BB1_3 Depth=1
	s_or_saveexec_b32 s0, s0
	v_mov_b32_e32 v13, v3
	s_add_i32 s19, s18, -1
	s_xor_b32 exec_lo, exec_lo, s0
; %bb.8:                                ;   in Loop: Header=BB1_3 Depth=1
	v_dual_mov_b32 v6, s19 :: v_dual_mov_b32 v13, v14
	v_mov_b32_e32 v2, v3
; %bb.9:                                ;   in Loop: Header=BB1_3 Depth=1
	s_or_b32 exec_lo, exec_lo, s0
	s_ashr_i32 s11, s10, 31
	s_delay_alu instid0(SALU_CYCLE_1) | instskip(NEXT) | instid1(SALU_CYCLE_1)
	s_lshl_b64 s[20:21], s[10:11], 2
	s_add_u32 s20, s2, s20
	s_addc_u32 s21, s3, s21
	global_load_u16 v3, v11, s[20:21] offset:1
	s_waitcnt vmcnt(0)
	v_lshrrev_b16 v14, 8, v3
	v_bfe_i32 v3, v3, 0, 8
	s_delay_alu instid0(VALU_DEP_2) | instskip(NEXT) | instid1(VALU_DEP_2)
	v_bfe_i32 v14, v14, 0, 8
	v_mul_lo_u32 v18, 0x60, v3
	s_delay_alu instid0(VALU_DEP_2) | instskip(SKIP_1) | instid1(VALU_DEP_2)
	v_add_nc_u32_e32 v16, v9, v14
	v_mad_u64_u32 v[14:15], null, 0x480, v3, v[0:1]
	v_add_nc_u32_e32 v17, 0xffffffa0, v16
	v_cmp_lt_i32_e32 vcc_lo, 0x5f, v16
	s_delay_alu instid0(VALU_DEP_3) | instskip(NEXT) | instid1(VALU_DEP_3)
	v_ashrrev_i32_e32 v15, 31, v14
	v_cndmask_b32_e32 v3, v16, v17, vcc_lo
	s_delay_alu instid0(VALU_DEP_2) | instskip(NEXT) | instid1(VALU_DEP_2)
	v_lshlrev_b64 v[14:15], 2, v[14:15]
	v_add3_u32 v16, v18, v8, v3
	s_delay_alu instid0(VALU_DEP_2) | instskip(NEXT) | instid1(VALU_DEP_2)
	v_add_co_u32 v14, vcc_lo, s8, v14
	v_ashrrev_i32_e32 v17, 31, v16
	s_delay_alu instid0(VALU_DEP_4) | instskip(NEXT) | instid1(VALU_DEP_2)
	v_add_co_ci_u32_e32 v15, vcc_lo, s9, v15, vcc_lo
	v_lshlrev_b64 v[16:17], 2, v[16:17]
	s_delay_alu instid0(VALU_DEP_1) | instskip(NEXT) | instid1(VALU_DEP_2)
	v_add_co_u32 v16, vcc_lo, s4, v16
	v_add_co_ci_u32_e32 v17, vcc_lo, s5, v17, vcc_lo
	global_load_b32 v3, v[14:15], off
	global_load_b32 v14, v[16:17], off
	s_waitcnt vmcnt(1)
	ds_store_b32 v10, v3 offset:768
	s_waitcnt vmcnt(0)
	v_sub_f32_e32 v14, v14, v3
	s_delay_alu instid0(VALU_DEP_1) | instskip(SKIP_1) | instid1(VALU_DEP_1)
	v_and_b32_e32 v15, 0x7fffffff, v14
	v_cmp_nlt_f32_e64 s0, |v14|, v13
	s_and_saveexec_b32 s11, s0
	s_delay_alu instid0(SALU_CYCLE_1)
	s_xor_b32 s0, exec_lo, s11
	s_cbranch_execz .LBB1_13
; %bb.10:                               ;   in Loop: Header=BB1_3 Depth=1
	s_mov_b32 s11, exec_lo
	v_cmpx_lt_f32_e64 |v14|, v2
; %bb.11:                               ;   in Loop: Header=BB1_3 Depth=1
	v_mov_b32_e32 v2, v15
; %bb.12:                               ;   in Loop: Header=BB1_3 Depth=1
	s_or_b32 exec_lo, exec_lo, s11
                                        ; implicit-def: $vgpr15
.LBB1_13:                               ;   in Loop: Header=BB1_3 Depth=1
	s_or_saveexec_b32 s0, s0
	v_mov_b32_e32 v3, v13
	s_xor_b32 exec_lo, exec_lo, s0
; %bb.14:                               ;   in Loop: Header=BB1_3 Depth=1
	v_dual_mov_b32 v6, s18 :: v_dual_mov_b32 v3, v15
	v_mov_b32_e32 v2, v13
; %bb.15:                               ;   in Loop: Header=BB1_3 Depth=1
	s_or_b32 exec_lo, exec_lo, s0
	v_cmp_gt_f32_e32 vcc_lo, 0, v12
	v_cmp_gt_f32_e64 s0, 0, v14
	s_add_i32 s11, s18, 2
	s_add_i32 s10, s10, 24
	v_add_nc_u32_e32 v10, 0x600, v10
	v_cndmask_b32_e64 v12, 0, 1, vcc_lo
	v_cndmask_b32_e64 v13, 0, 1, s0
	v_cndmask_b32_e64 v5, v5, -v5, vcc_lo
	s_add_u32 s12, s12, 0x60
	s_addc_u32 s13, s13, 0
	v_lshlrev_b32_e32 v12, s19, v12
	v_lshlrev_b32_e32 v13, s18, v13
	v_cndmask_b32_e64 v5, v5, -v5, s0
	s_add_i32 s0, s18, 1
	s_delay_alu instid0(SALU_CYCLE_1) | instskip(SKIP_1) | instid1(VALU_DEP_1)
	s_cmp_eq_u32 s0, s17
	v_or_b32_e32 v7, v7, v12
	v_or_b32_e32 v7, v7, v13
	s_cbranch_scc1 .LBB1_19
; %bb.16:                               ;   in Loop: Header=BB1_3 Depth=1
	s_mov_b32 s18, s11
	s_branch .LBB1_3
.LBB1_17:
	v_dual_mov_b32 v5, 0x3f400000 :: v_dual_mov_b32 v6, 0
	v_mov_b32_e32 v3, 0x447a0000
	s_branch .LBB1_28
.LBB1_18:
	v_dual_mov_b32 v5, 1.0 :: v_dual_mov_b32 v2, 0x447a0000
	v_mov_b32_e32 v7, 0
.LBB1_19:
	s_bitcmp0_b32 s16, 0
	s_cbranch_scc1 .LBB1_27
; %bb.20:
	s_mul_i32 s10, s0, 12
	v_mov_b32_e32 v10, 0
	s_add_i32 s10, s10, s14
	s_delay_alu instid0(SALU_CYCLE_1) | instskip(NEXT) | instid1(SALU_CYCLE_1)
	s_ashr_i32 s11, s10, 31
	s_lshl_b64 s[10:11], s[10:11], 2
	s_waitcnt lgkmcnt(0)
	s_add_u32 s10, s2, s10
	s_addc_u32 s11, s3, s11
	global_load_u16 v10, v10, s[10:11] offset:1
	s_waitcnt vmcnt(0)
	v_lshrrev_b16 v11, 8, v10
	v_bfe_i32 v12, v10, 0, 8
	s_delay_alu instid0(VALU_DEP_2) | instskip(NEXT) | instid1(VALU_DEP_2)
	v_bfe_i32 v11, v11, 0, 8
	v_mul_lo_u32 v14, 0x60, v12
	s_delay_alu instid0(VALU_DEP_2) | instskip(SKIP_1) | instid1(VALU_DEP_2)
	v_add_nc_u32_e32 v11, v9, v11
	v_mad_u64_u32 v[9:10], null, 0x480, v12, v[0:1]
	v_add_nc_u32_e32 v13, 0xffffffa0, v11
	v_cmp_lt_i32_e32 vcc_lo, 0x5f, v11
	s_delay_alu instid0(VALU_DEP_2) | instskip(NEXT) | instid1(VALU_DEP_1)
	v_cndmask_b32_e32 v10, v11, v13, vcc_lo
	v_add3_u32 v11, v14, v8, v10
	v_ashrrev_i32_e32 v10, 31, v9
	s_delay_alu instid0(VALU_DEP_2) | instskip(NEXT) | instid1(VALU_DEP_2)
	v_ashrrev_i32_e32 v12, 31, v11
	v_lshlrev_b64 v[8:9], 2, v[9:10]
	s_delay_alu instid0(VALU_DEP_2) | instskip(NEXT) | instid1(VALU_DEP_2)
	v_lshlrev_b64 v[10:11], 2, v[11:12]
	v_add_co_u32 v8, vcc_lo, s8, v8
	s_delay_alu instid0(VALU_DEP_3) | instskip(NEXT) | instid1(VALU_DEP_3)
	v_add_co_ci_u32_e32 v9, vcc_lo, s9, v9, vcc_lo
	v_add_co_u32 v10, vcc_lo, s4, v10
	s_delay_alu instid0(VALU_DEP_4) | instskip(SKIP_3) | instid1(VALU_DEP_1)
	v_add_co_ci_u32_e32 v11, vcc_lo, s5, v11, vcc_lo
	global_load_b32 v12, v[8:9], off
	global_load_b32 v8, v[10:11], off
	v_mad_u64_u32 v[10:11], null, 0xc0, s0, v[1:2]
	v_lshl_add_u32 v10, v10, 2, 0
	s_waitcnt vmcnt(1)
	ds_store_b32 v10, v12
	s_waitcnt vmcnt(0)
	v_sub_f32_e32 v9, v8, v12
	s_delay_alu instid0(VALU_DEP_1) | instskip(SKIP_3) | instid1(VALU_DEP_2)
	v_cmp_gt_f32_e32 vcc_lo, 0, v9
	v_cmp_nlt_f32_e64 s4, |v9|, v3
	v_cndmask_b32_e64 v8, 0, 1, vcc_lo
	v_cndmask_b32_e64 v5, v5, -v5, vcc_lo
	v_lshlrev_b32_e32 v11, s0, v8
	v_and_b32_e32 v8, 0x7fffffff, v9
	s_delay_alu instid0(VALU_DEP_2) | instskip(SKIP_1) | instid1(SALU_CYCLE_1)
	v_or_b32_e32 v7, v7, v11
	s_and_saveexec_b32 s5, s4
	s_xor_b32 s4, exec_lo, s5
	s_cbranch_execz .LBB1_24
; %bb.21:
	s_mov_b32 s5, exec_lo
	v_cmpx_lt_f32_e64 |v9|, v2
; %bb.22:
	v_mov_b32_e32 v2, v8
; %bb.23:
	s_or_b32 exec_lo, exec_lo, s5
                                        ; implicit-def: $vgpr8
.LBB1_24:
	s_and_not1_saveexec_b32 s4, s4
; %bb.25:
	v_mov_b32_e32 v6, s0
	v_dual_mov_b32 v2, v3 :: v_dual_mov_b32 v3, v8
; %bb.26:
	s_or_b32 exec_lo, exec_lo, s4
.LBB1_27:
	s_delay_alu instid0(VALU_DEP_1)
	v_bfe_i32 v7, v7, 0, 8
	v_mul_f32_e32 v5, 0x3f400000, v5
	v_bfe_i32 v6, v6, 0, 8
.LBB1_28:
	s_and_not1_b32 vcc_lo, exec_lo, s1
	s_waitcnt lgkmcnt(0)
	s_barrier
	buffer_gl0_inv
	s_cbranch_vccnz .LBB1_35
; %bb.29:
	v_cmp_gt_u16_e32 vcc_lo, 4, v4
	s_mov_b32 s10, 0
	s_cbranch_vccnz .LBB1_32
; %bb.30:
	s_lshl_b64 s[4:5], s[14:15], 2
	s_and_b32 s11, s16, 0x7c
	s_add_i32 s0, s14, 36
	v_lshl_add_u32 v4, v1, 2, 0
	s_add_u32 s1, s4, s2
	v_mov_b32_e32 v8, 0
	s_addc_u32 s5, s5, s3
	s_add_u32 s4, s1, 1
	s_addc_u32 s5, s5, 0
.LBB1_31:                               ; =>This Inner Loop Header: Depth=1
	global_load_i8 v13, v8, s[4:5]
	v_lshrrev_b32_e32 v11, s10, v7
	v_cmp_eq_u32_e32 vcc_lo, s10, v6
	ds_load_2addr_stride64_b32 v[9:10], v4 offset1:3
	s_sub_i32 s12, s0, 24
	s_add_i32 s1, s10, 1
	v_lshlrev_b16 v11, 1, v11
	v_cndmask_b32_e32 v12, v3, v2, vcc_lo
	s_ashr_i32 s13, s12, 31
	s_delay_alu instid0(SALU_CYCLE_1) | instskip(NEXT) | instid1(VALU_DEP_2)
	s_lshl_b64 s[12:13], s[12:13], 2
	v_and_b32_e32 v11, 2, v11
	s_add_u32 s12, s2, s12
	s_addc_u32 s13, s3, s13
	s_delay_alu instid0(VALU_DEP_1) | instskip(NEXT) | instid1(VALU_DEP_1)
	v_sub_nc_u16 v11, 1, v11
	v_bfe_i32 v11, v11, 0, 16
	s_delay_alu instid0(VALU_DEP_1) | instskip(NEXT) | instid1(VALU_DEP_1)
	v_cvt_f32_i32_e32 v11, v11
	v_mul_f32_e32 v11, v5, v11
	s_delay_alu instid0(VALU_DEP_1) | instskip(SKIP_4) | instid1(VALU_DEP_1)
	v_mul_f32_e32 v15, v12, v11
	s_waitcnt lgkmcnt(0)
	v_fma_f32 v9, v12, v11, -v9
	s_waitcnt vmcnt(0)
	v_mad_u64_u32 v[11:12], null, 0x480, v13, v[0:1]
	v_ashrrev_i32_e32 v12, 31, v11
	s_delay_alu instid0(VALU_DEP_1) | instskip(NEXT) | instid1(VALU_DEP_1)
	v_lshlrev_b64 v[11:12], 2, v[11:12]
	v_add_co_u32 v13, vcc_lo, s6, v11
	s_delay_alu instid0(VALU_DEP_2)
	v_add_co_ci_u32_e32 v14, vcc_lo, s7, v12, vcc_lo
	v_add_co_u32 v11, vcc_lo, s8, v11
	v_add_co_ci_u32_e32 v12, vcc_lo, s9, v12, vcc_lo
	v_cmp_eq_u32_e32 vcc_lo, s1, v6
	global_store_b32 v[13:14], v9, off
	global_store_b32 v[11:12], v15, off
	global_load_i8 v11, v8, s[12:13] offset:1
	v_lshrrev_b32_e32 v9, s1, v7
	v_cndmask_b32_e32 v12, v3, v2, vcc_lo
	s_add_i32 s12, s0, -12
	s_add_i32 s1, s10, 2
	s_ashr_i32 s13, s12, 31
	v_lshlrev_b16 v9, 1, v9
	s_lshl_b64 s[12:13], s[12:13], 2
	s_delay_alu instid0(SALU_CYCLE_1) | instskip(SKIP_1) | instid1(VALU_DEP_1)
	s_add_u32 s12, s2, s12
	s_addc_u32 s13, s3, s13
	v_and_b32_e32 v9, 2, v9
	s_add_i32 s15, s10, 3
	s_delay_alu instid0(VALU_DEP_1) | instskip(NEXT) | instid1(VALU_DEP_1)
	v_sub_nc_u16 v9, 1, v9
	v_bfe_i32 v9, v9, 0, 16
	s_delay_alu instid0(VALU_DEP_1) | instskip(NEXT) | instid1(VALU_DEP_1)
	v_cvt_f32_i32_e32 v9, v9
	v_mul_f32_e32 v9, v5, v9
	s_delay_alu instid0(VALU_DEP_1) | instskip(SKIP_3) | instid1(VALU_DEP_1)
	v_mul_f32_e32 v13, v12, v9
	v_fma_f32 v14, v12, v9, -v10
	s_waitcnt vmcnt(0)
	v_mad_u64_u32 v[9:10], null, 0x480, v11, v[0:1]
	v_ashrrev_i32_e32 v10, 31, v9
	s_delay_alu instid0(VALU_DEP_1) | instskip(NEXT) | instid1(VALU_DEP_1)
	v_lshlrev_b64 v[9:10], 2, v[9:10]
	v_add_co_u32 v11, vcc_lo, s6, v9
	s_delay_alu instid0(VALU_DEP_2)
	v_add_co_ci_u32_e32 v12, vcc_lo, s7, v10, vcc_lo
	v_add_co_u32 v9, vcc_lo, s8, v9
	v_add_co_ci_u32_e32 v10, vcc_lo, s9, v10, vcc_lo
	global_store_b32 v[11:12], v14, off
	global_store_b32 v[9:10], v13, off
	global_load_i8 v13, v8, s[12:13] offset:1
	v_lshrrev_b32_e32 v11, s1, v7
	ds_load_2addr_stride64_b32 v[9:10], v4 offset0:6 offset1:9
	v_add_nc_u32_e32 v4, 0xc00, v4
	v_cmp_eq_u32_e32 vcc_lo, s1, v6
	s_ashr_i32 s1, s0, 31
	v_lshlrev_b16 v11, 1, v11
	s_lshl_b64 s[12:13], s[0:1], 2
	v_cndmask_b32_e32 v12, v3, v2, vcc_lo
	s_add_u32 s12, s2, s12
	s_delay_alu instid0(VALU_DEP_2)
	v_and_b32_e32 v11, 2, v11
	s_addc_u32 s13, s3, s13
	s_add_i32 s10, s10, 4
	s_add_i32 s0, s0, 48
	s_add_u32 s4, s4, 0xc0
	v_sub_nc_u16 v11, 1, v11
	s_addc_u32 s5, s5, 0
	s_cmp_eq_u32 s10, s11
	s_delay_alu instid0(VALU_DEP_1) | instskip(NEXT) | instid1(VALU_DEP_1)
	v_bfe_i32 v11, v11, 0, 16
	v_cvt_f32_i32_e32 v11, v11
	s_delay_alu instid0(VALU_DEP_1) | instskip(NEXT) | instid1(VALU_DEP_1)
	v_mul_f32_e32 v11, v5, v11
	v_mul_f32_e32 v15, v12, v11
	s_waitcnt lgkmcnt(0)
	v_fma_f32 v9, v12, v11, -v9
	s_waitcnt vmcnt(0)
	v_mad_u64_u32 v[11:12], null, 0x480, v13, v[0:1]
	s_delay_alu instid0(VALU_DEP_1) | instskip(NEXT) | instid1(VALU_DEP_1)
	v_ashrrev_i32_e32 v12, 31, v11
	v_lshlrev_b64 v[11:12], 2, v[11:12]
	s_delay_alu instid0(VALU_DEP_1) | instskip(NEXT) | instid1(VALU_DEP_2)
	v_add_co_u32 v13, vcc_lo, s6, v11
	v_add_co_ci_u32_e32 v14, vcc_lo, s7, v12, vcc_lo
	v_add_co_u32 v11, vcc_lo, s8, v11
	v_add_co_ci_u32_e32 v12, vcc_lo, s9, v12, vcc_lo
	global_store_b32 v[13:14], v9, off
	global_store_b32 v[11:12], v15, off
	global_load_i8 v9, v8, s[12:13] offset:1
	v_lshrrev_b32_e32 v11, s15, v7
	v_cmp_eq_u32_e32 vcc_lo, s15, v6
	s_delay_alu instid0(VALU_DEP_2) | instskip(SKIP_1) | instid1(VALU_DEP_2)
	v_lshlrev_b16 v11, 1, v11
	v_cndmask_b32_e32 v13, v3, v2, vcc_lo
	v_and_b32_e32 v11, 2, v11
	s_delay_alu instid0(VALU_DEP_1) | instskip(NEXT) | instid1(VALU_DEP_1)
	v_sub_nc_u16 v11, 1, v11
	v_bfe_i32 v11, v11, 0, 16
	s_delay_alu instid0(VALU_DEP_1) | instskip(NEXT) | instid1(VALU_DEP_1)
	v_cvt_f32_i32_e32 v11, v11
	v_mul_f32_e32 v14, v5, v11
	s_delay_alu instid0(VALU_DEP_1) | instskip(SKIP_3) | instid1(VALU_DEP_1)
	v_mul_f32_e32 v15, v13, v14
	v_fma_f32 v13, v13, v14, -v10
	s_waitcnt vmcnt(0)
	v_mad_u64_u32 v[11:12], null, 0x480, v9, v[0:1]
	v_ashrrev_i32_e32 v12, 31, v11
	s_delay_alu instid0(VALU_DEP_1) | instskip(NEXT) | instid1(VALU_DEP_1)
	v_lshlrev_b64 v[9:10], 2, v[11:12]
	v_add_co_u32 v11, vcc_lo, s6, v9
	s_delay_alu instid0(VALU_DEP_2)
	v_add_co_ci_u32_e32 v12, vcc_lo, s7, v10, vcc_lo
	v_add_co_u32 v9, vcc_lo, s8, v9
	v_add_co_ci_u32_e32 v10, vcc_lo, s9, v10, vcc_lo
	global_store_b32 v[11:12], v13, off
	global_store_b32 v[9:10], v15, off
	s_cbranch_scc0 .LBB1_31
.LBB1_32:
	s_and_b32 s4, s16, 3
	s_delay_alu instid0(SALU_CYCLE_1)
	s_cmp_eq_u32 s4, 0
	s_cbranch_scc1 .LBB1_35
; %bb.33:
	v_mad_u64_u32 v[8:9], null, 0xc0, s10, v[1:2]
	s_mul_i32 s0, s10, 12
	v_mov_b32_e32 v4, 0
	s_add_i32 s0, s14, s0
	s_delay_alu instid0(SALU_CYCLE_1) | instskip(NEXT) | instid1(SALU_CYCLE_1)
	s_ashr_i32 s1, s0, 31
	s_lshl_b64 s[0:1], s[0:1], 2
	s_delay_alu instid0(VALU_DEP_2)
	v_lshl_add_u32 v1, v8, 2, 0
	s_add_u32 s0, s0, s2
	s_addc_u32 s1, s1, s3
	s_add_u32 s0, s0, 1
	s_addc_u32 s1, s1, 0
	s_set_inst_prefetch_distance 0x1
	.p2align	6
.LBB1_34:                               ; =>This Inner Loop Header: Depth=1
	global_load_i8 v10, v4, s[0:1]
	v_lshrrev_b32_e32 v8, s10, v7
	v_cmp_eq_u32_e32 vcc_lo, s10, v6
	ds_load_b32 v12, v1
	v_add_nc_u32_e32 v1, 0x300, v1
	s_add_i32 s10, s10, 1
	v_lshlrev_b16 v8, 1, v8
	v_cndmask_b32_e32 v11, v3, v2, vcc_lo
	s_add_u32 s0, s0, 48
	s_addc_u32 s1, s1, 0
	s_add_i32 s4, s4, -1
	v_and_b32_e32 v8, 2, v8
	s_cmp_lg_u32 s4, 0
	s_delay_alu instid0(VALU_DEP_1) | instskip(NEXT) | instid1(VALU_DEP_1)
	v_sub_nc_u16 v8, 1, v8
	v_bfe_i32 v8, v8, 0, 16
	s_delay_alu instid0(VALU_DEP_1) | instskip(NEXT) | instid1(VALU_DEP_1)
	v_cvt_f32_i32_e32 v8, v8
	v_mul_f32_e32 v13, v5, v8
	s_delay_alu instid0(VALU_DEP_1) | instskip(SKIP_4) | instid1(VALU_DEP_1)
	v_mul_f32_e32 v14, v11, v13
	s_waitcnt lgkmcnt(0)
	v_fma_f32 v12, v11, v13, -v12
	s_waitcnt vmcnt(0)
	v_mad_u64_u32 v[8:9], null, 0x480, v10, v[0:1]
	v_ashrrev_i32_e32 v9, 31, v8
	s_delay_alu instid0(VALU_DEP_1) | instskip(NEXT) | instid1(VALU_DEP_1)
	v_lshlrev_b64 v[8:9], 2, v[8:9]
	v_add_co_u32 v10, vcc_lo, s6, v8
	s_delay_alu instid0(VALU_DEP_2)
	v_add_co_ci_u32_e32 v11, vcc_lo, s7, v9, vcc_lo
	v_add_co_u32 v8, vcc_lo, s8, v8
	v_add_co_ci_u32_e32 v9, vcc_lo, s9, v9, vcc_lo
	global_store_b32 v[10:11], v12, off
	global_store_b32 v[8:9], v14, off
	s_cbranch_scc1 .LBB1_34
.LBB1_35:
	s_set_inst_prefetch_distance 0x2
	s_nop 0
	s_sendmsg sendmsg(MSG_DEALLOC_VGPRS)
	s_endpgm
	.section	.rodata,"a",@progbits
	.p2align	6, 0x0
	.amdhsa_kernel _Z15ldpc_cnp_kernelPKfPfS1_PKcPK9h_element
		.amdhsa_group_segment_fixed_size 0
		.amdhsa_private_segment_fixed_size 0
		.amdhsa_kernarg_size 296
		.amdhsa_user_sgpr_count 14
		.amdhsa_user_sgpr_dispatch_ptr 0
		.amdhsa_user_sgpr_queue_ptr 0
		.amdhsa_user_sgpr_kernarg_segment_ptr 1
		.amdhsa_user_sgpr_dispatch_id 0
		.amdhsa_user_sgpr_private_segment_size 0
		.amdhsa_wavefront_size32 1
		.amdhsa_uses_dynamic_stack 0
		.amdhsa_enable_private_segment 0
		.amdhsa_system_sgpr_workgroup_id_x 1
		.amdhsa_system_sgpr_workgroup_id_y 1
		.amdhsa_system_sgpr_workgroup_id_z 0
		.amdhsa_system_sgpr_workgroup_info 0
		.amdhsa_system_vgpr_workitem_id 1
		.amdhsa_next_free_vgpr 19
		.amdhsa_next_free_sgpr 22
		.amdhsa_reserve_vcc 1
		.amdhsa_float_round_mode_32 0
		.amdhsa_float_round_mode_16_64 0
		.amdhsa_float_denorm_mode_32 3
		.amdhsa_float_denorm_mode_16_64 3
		.amdhsa_dx10_clamp 1
		.amdhsa_ieee_mode 1
		.amdhsa_fp16_overflow 0
		.amdhsa_workgroup_processor_mode 1
		.amdhsa_memory_ordered 1
		.amdhsa_forward_progress 0
		.amdhsa_shared_vgpr_count 0
		.amdhsa_exception_fp_ieee_invalid_op 0
		.amdhsa_exception_fp_denorm_src 0
		.amdhsa_exception_fp_ieee_div_zero 0
		.amdhsa_exception_fp_ieee_overflow 0
		.amdhsa_exception_fp_ieee_underflow 0
		.amdhsa_exception_fp_ieee_inexact 0
		.amdhsa_exception_int_div_zero 0
	.end_amdhsa_kernel
	.text
.Lfunc_end1:
	.size	_Z15ldpc_cnp_kernelPKfPfS1_PKcPK9h_element, .Lfunc_end1-_Z15ldpc_cnp_kernelPKfPfS1_PKcPK9h_element
                                        ; -- End function
	.section	.AMDGPU.csdata,"",@progbits
; Kernel info:
; codeLenInByte = 2592
; NumSgprs: 24
; NumVgprs: 19
; ScratchSize: 0
; MemoryBound: 0
; FloatMode: 240
; IeeeMode: 1
; LDSByteSize: 0 bytes/workgroup (compile time only)
; SGPRBlocks: 2
; VGPRBlocks: 2
; NumSGPRsForWavesPerEU: 24
; NumVGPRsForWavesPerEU: 19
; Occupancy: 16
; WaveLimiterHint : 1
; COMPUTE_PGM_RSRC2:SCRATCH_EN: 0
; COMPUTE_PGM_RSRC2:USER_SGPR: 14
; COMPUTE_PGM_RSRC2:TRAP_HANDLER: 0
; COMPUTE_PGM_RSRC2:TGID_X_EN: 1
; COMPUTE_PGM_RSRC2:TGID_Y_EN: 1
; COMPUTE_PGM_RSRC2:TGID_Z_EN: 0
; COMPUTE_PGM_RSRC2:TIDIG_COMP_CNT: 1
	.text
	.protected	_Z22ldpc_vnp_kernel_normalPfS_PKcPK9h_element ; -- Begin function _Z22ldpc_vnp_kernel_normalPfS_PKcPK9h_element
	.globl	_Z22ldpc_vnp_kernel_normalPfS_PKcPK9h_element
	.p2align	8
	.type	_Z22ldpc_vnp_kernel_normalPfS_PKcPK9h_element,@function
_Z22ldpc_vnp_kernel_normalPfS_PKcPK9h_element: ; @_Z22ldpc_vnp_kernel_normalPfS_PKcPK9h_element
; %bb.0:
	v_bfe_u32 v1, v0, 10, 10
	s_load_b256 s[0:7], s[0:1], 0x0
	v_and_b32_e32 v4, 0x3ff, v0
	s_mul_i32 s8, s14, 0x60
	v_mov_b32_e32 v6, 0
	v_lshl_add_u32 v8, s15, 1, v1
	s_ashr_i32 s15, s14, 31
	s_delay_alu instid0(VALU_DEP_1) | instskip(NEXT) | instid1(VALU_DEP_1)
	v_mul_lo_u32 v1, 0x900, v8
	v_add3_u32 v0, s8, v4, v1
	s_waitcnt lgkmcnt(0)
	s_add_u32 s4, s4, s14
	s_addc_u32 s5, s5, s15
	s_delay_alu instid0(VALU_DEP_1) | instskip(SKIP_2) | instid1(VALU_DEP_1)
	v_ashrrev_i32_e32 v1, 31, v0
	global_load_i8 v7, v6, s[4:5]
	v_lshlrev_b64 v[0:1], 2, v[0:1]
	v_add_co_u32 v0, vcc_lo, s0, v0
	s_delay_alu instid0(VALU_DEP_2)
	v_add_co_ci_u32_e32 v1, vcc_lo, s1, v1, vcc_lo
	global_load_b32 v5, v[0:1], off
	s_waitcnt vmcnt(1)
	v_cmp_gt_i32_e32 vcc_lo, 1, v7
	s_cbranch_vccnz .LBB2_3
; %bb.1:
	s_mul_i32 s0, s14, 0x480
	s_delay_alu instid0(SALU_CYCLE_1) | instskip(SKIP_1) | instid1(SALU_CYCLE_1)
	v_mad_u64_u32 v[2:3], null, 0x6c00, v8, s[0:1]
	s_lshl_b64 s[0:1], s[14:15], 2
	s_add_u32 s0, s0, s6
	s_addc_u32 s1, s1, s7
	s_add_u32 s0, s0, 2
	s_addc_u32 s1, s1, 0
	.p2align	6
.LBB2_2:                                ; =>This Inner Loop Header: Depth=1
	s_clause 0x1
	global_load_i8 v3, v6, s[0:1]
	global_load_i8 v8, v6, s[0:1] offset:-2
	v_add_nc_u32_e32 v7, -1, v7
	s_add_u32 s0, s0, 0x60
	s_addc_u32 s1, s1, 0
	s_waitcnt vmcnt(1)
	v_sub_nc_u32_e32 v3, v4, v3
	s_waitcnt vmcnt(0)
	v_mul_lo_u32 v8, 0x60, v8
	s_delay_alu instid0(VALU_DEP_2) | instskip(SKIP_1) | instid1(VALU_DEP_2)
	v_add_nc_u32_e32 v9, 0x60, v3
	v_cmp_gt_i32_e32 vcc_lo, 0, v3
	v_cndmask_b32_e32 v3, v3, v9, vcc_lo
	s_delay_alu instid0(VALU_DEP_1) | instskip(NEXT) | instid1(VALU_DEP_1)
	v_add3_u32 v8, v2, v8, v3
	v_ashrrev_i32_e32 v9, 31, v8
	s_delay_alu instid0(VALU_DEP_1) | instskip(NEXT) | instid1(VALU_DEP_1)
	v_lshlrev_b64 v[8:9], 2, v[8:9]
	v_add_co_u32 v8, vcc_lo, s2, v8
	s_delay_alu instid0(VALU_DEP_2)
	v_add_co_ci_u32_e32 v9, vcc_lo, s3, v9, vcc_lo
	v_cmp_eq_u32_e32 vcc_lo, 0, v7
	global_load_b32 v3, v[8:9], off
	s_waitcnt vmcnt(0)
	v_add_f32_e32 v5, v5, v3
	s_cbranch_vccz .LBB2_2
.LBB2_3:
	s_waitcnt vmcnt(0)
	global_store_b32 v[0:1], v5, off
	s_nop 0
	s_sendmsg sendmsg(MSG_DEALLOC_VGPRS)
	s_endpgm
	.section	.rodata,"a",@progbits
	.p2align	6, 0x0
	.amdhsa_kernel _Z22ldpc_vnp_kernel_normalPfS_PKcPK9h_element
		.amdhsa_group_segment_fixed_size 0
		.amdhsa_private_segment_fixed_size 0
		.amdhsa_kernarg_size 32
		.amdhsa_user_sgpr_count 14
		.amdhsa_user_sgpr_dispatch_ptr 0
		.amdhsa_user_sgpr_queue_ptr 0
		.amdhsa_user_sgpr_kernarg_segment_ptr 1
		.amdhsa_user_sgpr_dispatch_id 0
		.amdhsa_user_sgpr_private_segment_size 0
		.amdhsa_wavefront_size32 1
		.amdhsa_uses_dynamic_stack 0
		.amdhsa_enable_private_segment 0
		.amdhsa_system_sgpr_workgroup_id_x 1
		.amdhsa_system_sgpr_workgroup_id_y 1
		.amdhsa_system_sgpr_workgroup_id_z 0
		.amdhsa_system_sgpr_workgroup_info 0
		.amdhsa_system_vgpr_workitem_id 1
		.amdhsa_next_free_vgpr 10
		.amdhsa_next_free_sgpr 16
		.amdhsa_reserve_vcc 1
		.amdhsa_float_round_mode_32 0
		.amdhsa_float_round_mode_16_64 0
		.amdhsa_float_denorm_mode_32 3
		.amdhsa_float_denorm_mode_16_64 3
		.amdhsa_dx10_clamp 1
		.amdhsa_ieee_mode 1
		.amdhsa_fp16_overflow 0
		.amdhsa_workgroup_processor_mode 1
		.amdhsa_memory_ordered 1
		.amdhsa_forward_progress 0
		.amdhsa_shared_vgpr_count 0
		.amdhsa_exception_fp_ieee_invalid_op 0
		.amdhsa_exception_fp_denorm_src 0
		.amdhsa_exception_fp_ieee_div_zero 0
		.amdhsa_exception_fp_ieee_overflow 0
		.amdhsa_exception_fp_ieee_underflow 0
		.amdhsa_exception_fp_ieee_inexact 0
		.amdhsa_exception_int_div_zero 0
	.end_amdhsa_kernel
	.text
.Lfunc_end2:
	.size	_Z22ldpc_vnp_kernel_normalPfS_PKcPK9h_element, .Lfunc_end2-_Z22ldpc_vnp_kernel_normalPfS_PKcPK9h_element
                                        ; -- End function
	.section	.AMDGPU.csdata,"",@progbits
; Kernel info:
; codeLenInByte = 360
; NumSgprs: 18
; NumVgprs: 10
; ScratchSize: 0
; MemoryBound: 0
; FloatMode: 240
; IeeeMode: 1
; LDSByteSize: 0 bytes/workgroup (compile time only)
; SGPRBlocks: 2
; VGPRBlocks: 1
; NumSGPRsForWavesPerEU: 18
; NumVGPRsForWavesPerEU: 10
; Occupancy: 16
; WaveLimiterHint : 1
; COMPUTE_PGM_RSRC2:SCRATCH_EN: 0
; COMPUTE_PGM_RSRC2:USER_SGPR: 14
; COMPUTE_PGM_RSRC2:TRAP_HANDLER: 0
; COMPUTE_PGM_RSRC2:TGID_X_EN: 1
; COMPUTE_PGM_RSRC2:TGID_Y_EN: 1
; COMPUTE_PGM_RSRC2:TGID_Z_EN: 0
; COMPUTE_PGM_RSRC2:TIDIG_COMP_CNT: 1
	.text
	.protected	_Z25ldpc_vnp_kernel_last_iterPKfS0_PiPKcPK9h_element ; -- Begin function _Z25ldpc_vnp_kernel_last_iterPKfS0_PiPKcPK9h_element
	.globl	_Z25ldpc_vnp_kernel_last_iterPKfS0_PiPKcPK9h_element
	.p2align	8
	.type	_Z25ldpc_vnp_kernel_last_iterPKfS0_PiPKcPK9h_element,@function
_Z25ldpc_vnp_kernel_last_iterPKfS0_PiPKcPK9h_element: ; @_Z25ldpc_vnp_kernel_last_iterPKfS0_PiPKcPK9h_element
; %bb.0:
	v_bfe_u32 v1, v0, 10, 10
	s_load_b256 s[4:11], s[0:1], 0x0
	v_and_b32_e32 v4, 0x3ff, v0
	s_mul_i32 s2, s14, 0x60
	v_mov_b32_e32 v6, 0
	v_lshl_add_u32 v8, s15, 1, v1
	s_ashr_i32 s15, s14, 31
	s_load_b64 s[0:1], s[0:1], 0x20
	s_delay_alu instid0(VALU_DEP_1) | instskip(NEXT) | instid1(VALU_DEP_1)
	v_mul_lo_u32 v1, 0x900, v8
	v_add3_u32 v0, s2, v4, v1
	s_waitcnt lgkmcnt(0)
	s_add_u32 s2, s10, s14
	s_addc_u32 s3, s11, s15
	s_delay_alu instid0(VALU_DEP_1) | instskip(SKIP_2) | instid1(VALU_DEP_1)
	v_ashrrev_i32_e32 v1, 31, v0
	global_load_i8 v7, v6, s[2:3]
	v_lshlrev_b64 v[0:1], 2, v[0:1]
	v_add_co_u32 v2, vcc_lo, s4, v0
	s_delay_alu instid0(VALU_DEP_2)
	v_add_co_ci_u32_e32 v3, vcc_lo, s5, v1, vcc_lo
	global_load_b32 v5, v[2:3], off
	s_waitcnt vmcnt(1)
	v_cmp_gt_i32_e32 vcc_lo, 1, v7
	s_cbranch_vccnz .LBB3_3
; %bb.1:
	s_mul_i32 s2, s14, 0x480
	s_delay_alu instid0(SALU_CYCLE_1) | instskip(SKIP_1) | instid1(SALU_CYCLE_1)
	v_mad_u64_u32 v[2:3], null, 0x6c00, v8, s[2:3]
	s_lshl_b64 s[2:3], s[14:15], 2
	s_add_u32 s0, s2, s0
	s_addc_u32 s1, s3, s1
	s_add_u32 s0, s0, 2
	s_addc_u32 s1, s1, 0
	.p2align	6
.LBB3_2:                                ; =>This Inner Loop Header: Depth=1
	s_clause 0x1
	global_load_i8 v3, v6, s[0:1]
	global_load_i8 v8, v6, s[0:1] offset:-2
	v_add_nc_u32_e32 v7, -1, v7
	s_add_u32 s0, s0, 0x60
	s_addc_u32 s1, s1, 0
	s_waitcnt vmcnt(1)
	v_sub_nc_u32_e32 v3, v4, v3
	s_waitcnt vmcnt(0)
	v_mul_lo_u32 v8, 0x60, v8
	s_delay_alu instid0(VALU_DEP_2) | instskip(SKIP_1) | instid1(VALU_DEP_2)
	v_add_nc_u32_e32 v9, 0x60, v3
	v_cmp_gt_i32_e32 vcc_lo, 0, v3
	v_cndmask_b32_e32 v3, v3, v9, vcc_lo
	s_delay_alu instid0(VALU_DEP_1) | instskip(NEXT) | instid1(VALU_DEP_1)
	v_add3_u32 v8, v2, v8, v3
	v_ashrrev_i32_e32 v9, 31, v8
	s_delay_alu instid0(VALU_DEP_1) | instskip(NEXT) | instid1(VALU_DEP_1)
	v_lshlrev_b64 v[8:9], 2, v[8:9]
	v_add_co_u32 v8, vcc_lo, s6, v8
	s_delay_alu instid0(VALU_DEP_2)
	v_add_co_ci_u32_e32 v9, vcc_lo, s7, v9, vcc_lo
	v_cmp_eq_u32_e32 vcc_lo, 0, v7
	global_load_b32 v3, v[8:9], off
	s_waitcnt vmcnt(0)
	v_add_f32_e32 v5, v5, v3
	s_cbranch_vccz .LBB3_2
.LBB3_3:
	s_waitcnt vmcnt(0)
	s_delay_alu instid0(VALU_DEP_1)
	v_cmp_nlt_f32_e32 vcc_lo, 0, v5
	v_cndmask_b32_e64 v2, 0, 1, vcc_lo
	v_add_co_u32 v0, vcc_lo, s8, v0
	v_add_co_ci_u32_e32 v1, vcc_lo, s9, v1, vcc_lo
	global_store_b32 v[0:1], v2, off
	s_nop 0
	s_sendmsg sendmsg(MSG_DEALLOC_VGPRS)
	s_endpgm
	.section	.rodata,"a",@progbits
	.p2align	6, 0x0
	.amdhsa_kernel _Z25ldpc_vnp_kernel_last_iterPKfS0_PiPKcPK9h_element
		.amdhsa_group_segment_fixed_size 0
		.amdhsa_private_segment_fixed_size 0
		.amdhsa_kernarg_size 40
		.amdhsa_user_sgpr_count 14
		.amdhsa_user_sgpr_dispatch_ptr 0
		.amdhsa_user_sgpr_queue_ptr 0
		.amdhsa_user_sgpr_kernarg_segment_ptr 1
		.amdhsa_user_sgpr_dispatch_id 0
		.amdhsa_user_sgpr_private_segment_size 0
		.amdhsa_wavefront_size32 1
		.amdhsa_uses_dynamic_stack 0
		.amdhsa_enable_private_segment 0
		.amdhsa_system_sgpr_workgroup_id_x 1
		.amdhsa_system_sgpr_workgroup_id_y 1
		.amdhsa_system_sgpr_workgroup_id_z 0
		.amdhsa_system_sgpr_workgroup_info 0
		.amdhsa_system_vgpr_workitem_id 1
		.amdhsa_next_free_vgpr 10
		.amdhsa_next_free_sgpr 16
		.amdhsa_reserve_vcc 1
		.amdhsa_float_round_mode_32 0
		.amdhsa_float_round_mode_16_64 0
		.amdhsa_float_denorm_mode_32 3
		.amdhsa_float_denorm_mode_16_64 3
		.amdhsa_dx10_clamp 1
		.amdhsa_ieee_mode 1
		.amdhsa_fp16_overflow 0
		.amdhsa_workgroup_processor_mode 1
		.amdhsa_memory_ordered 1
		.amdhsa_forward_progress 0
		.amdhsa_shared_vgpr_count 0
		.amdhsa_exception_fp_ieee_invalid_op 0
		.amdhsa_exception_fp_denorm_src 0
		.amdhsa_exception_fp_ieee_div_zero 0
		.amdhsa_exception_fp_ieee_overflow 0
		.amdhsa_exception_fp_ieee_underflow 0
		.amdhsa_exception_fp_ieee_inexact 0
		.amdhsa_exception_int_div_zero 0
	.end_amdhsa_kernel
	.text
.Lfunc_end3:
	.size	_Z25ldpc_vnp_kernel_last_iterPKfS0_PiPKcPK9h_element, .Lfunc_end3-_Z25ldpc_vnp_kernel_last_iterPKfS0_PiPKcPK9h_element
                                        ; -- End function
	.section	.AMDGPU.csdata,"",@progbits
; Kernel info:
; codeLenInByte = 396
; NumSgprs: 18
; NumVgprs: 10
; ScratchSize: 0
; MemoryBound: 0
; FloatMode: 240
; IeeeMode: 1
; LDSByteSize: 0 bytes/workgroup (compile time only)
; SGPRBlocks: 2
; VGPRBlocks: 1
; NumSGPRsForWavesPerEU: 18
; NumVGPRsForWavesPerEU: 10
; Occupancy: 16
; WaveLimiterHint : 1
; COMPUTE_PGM_RSRC2:SCRATCH_EN: 0
; COMPUTE_PGM_RSRC2:USER_SGPR: 14
; COMPUTE_PGM_RSRC2:TRAP_HANDLER: 0
; COMPUTE_PGM_RSRC2:TGID_X_EN: 1
; COMPUTE_PGM_RSRC2:TGID_Y_EN: 1
; COMPUTE_PGM_RSRC2:TGID_Z_EN: 0
; COMPUTE_PGM_RSRC2:TIDIG_COMP_CNT: 1
	.text
	.p2alignl 7, 3214868480
	.fill 96, 4, 3214868480
	.type	__hip_cuid_f0f138f7ec25e22,@object ; @__hip_cuid_f0f138f7ec25e22
	.section	.bss,"aw",@nobits
	.globl	__hip_cuid_f0f138f7ec25e22
__hip_cuid_f0f138f7ec25e22:
	.byte	0                               ; 0x0
	.size	__hip_cuid_f0f138f7ec25e22, 1

	.ident	"AMD clang version 19.0.0git (https://github.com/RadeonOpenCompute/llvm-project roc-6.4.0 25133 c7fe45cf4b819c5991fe208aaa96edf142730f1d)"
	.section	".note.GNU-stack","",@progbits
	.addrsig
	.addrsig_sym __hip_cuid_f0f138f7ec25e22
	.amdgpu_metadata
---
amdhsa.kernels:
  - .args:
      - .address_space:  global
        .offset:         0
        .size:           8
        .value_kind:     global_buffer
      - .address_space:  global
        .offset:         8
        .size:           8
        .value_kind:     global_buffer
      - .address_space:  global
        .offset:         16
        .size:           8
        .value_kind:     global_buffer
      - .address_space:  global
        .offset:         24
        .size:           8
        .value_kind:     global_buffer
      - .address_space:  global
        .offset:         32
        .size:           8
        .value_kind:     global_buffer
    .group_segment_fixed_size: 0
    .kernarg_segment_align: 8
    .kernarg_segment_size: 40
    .language:       OpenCL C
    .language_version:
      - 2
      - 0
    .max_flat_workgroup_size: 1024
    .name:           _Z24ldpc_cnp_kernel_1st_iterPKfPfS1_PKcPK9h_element
    .private_segment_fixed_size: 0
    .sgpr_count:     19
    .sgpr_spill_count: 0
    .symbol:         _Z24ldpc_cnp_kernel_1st_iterPKfPfS1_PKcPK9h_element.kd
    .uniform_work_group_size: 1
    .uses_dynamic_stack: false
    .vgpr_count:     12
    .vgpr_spill_count: 0
    .wavefront_size: 32
    .workgroup_processor_mode: 1
  - .args:
      - .address_space:  global
        .offset:         0
        .size:           8
        .value_kind:     global_buffer
      - .address_space:  global
        .offset:         8
        .size:           8
        .value_kind:     global_buffer
      - .address_space:  global
        .offset:         16
        .size:           8
        .value_kind:     global_buffer
      - .address_space:  global
        .offset:         24
        .size:           8
        .value_kind:     global_buffer
      - .address_space:  global
        .offset:         32
        .size:           8
        .value_kind:     global_buffer
      - .offset:         40
        .size:           4
        .value_kind:     hidden_block_count_x
      - .offset:         44
        .size:           4
        .value_kind:     hidden_block_count_y
      - .offset:         48
        .size:           4
        .value_kind:     hidden_block_count_z
      - .offset:         52
        .size:           2
        .value_kind:     hidden_group_size_x
      - .offset:         54
        .size:           2
        .value_kind:     hidden_group_size_y
      - .offset:         56
        .size:           2
        .value_kind:     hidden_group_size_z
      - .offset:         58
        .size:           2
        .value_kind:     hidden_remainder_x
      - .offset:         60
        .size:           2
        .value_kind:     hidden_remainder_y
      - .offset:         62
        .size:           2
        .value_kind:     hidden_remainder_z
      - .offset:         80
        .size:           8
        .value_kind:     hidden_global_offset_x
      - .offset:         88
        .size:           8
        .value_kind:     hidden_global_offset_y
      - .offset:         96
        .size:           8
        .value_kind:     hidden_global_offset_z
      - .offset:         104
        .size:           2
        .value_kind:     hidden_grid_dims
      - .offset:         160
        .size:           4
        .value_kind:     hidden_dynamic_lds_size
    .group_segment_fixed_size: 0
    .kernarg_segment_align: 8
    .kernarg_segment_size: 296
    .language:       OpenCL C
    .language_version:
      - 2
      - 0
    .max_flat_workgroup_size: 1024
    .name:           _Z15ldpc_cnp_kernelPKfPfS1_PKcPK9h_element
    .private_segment_fixed_size: 0
    .sgpr_count:     24
    .sgpr_spill_count: 0
    .symbol:         _Z15ldpc_cnp_kernelPKfPfS1_PKcPK9h_element.kd
    .uniform_work_group_size: 1
    .uses_dynamic_stack: false
    .vgpr_count:     19
    .vgpr_spill_count: 0
    .wavefront_size: 32
    .workgroup_processor_mode: 1
  - .args:
      - .address_space:  global
        .offset:         0
        .size:           8
        .value_kind:     global_buffer
      - .address_space:  global
        .offset:         8
        .size:           8
        .value_kind:     global_buffer
      - .address_space:  global
        .offset:         16
        .size:           8
        .value_kind:     global_buffer
      - .address_space:  global
        .offset:         24
        .size:           8
        .value_kind:     global_buffer
    .group_segment_fixed_size: 0
    .kernarg_segment_align: 8
    .kernarg_segment_size: 32
    .language:       OpenCL C
    .language_version:
      - 2
      - 0
    .max_flat_workgroup_size: 1024
    .name:           _Z22ldpc_vnp_kernel_normalPfS_PKcPK9h_element
    .private_segment_fixed_size: 0
    .sgpr_count:     18
    .sgpr_spill_count: 0
    .symbol:         _Z22ldpc_vnp_kernel_normalPfS_PKcPK9h_element.kd
    .uniform_work_group_size: 1
    .uses_dynamic_stack: false
    .vgpr_count:     10
    .vgpr_spill_count: 0
    .wavefront_size: 32
    .workgroup_processor_mode: 1
  - .args:
      - .address_space:  global
        .offset:         0
        .size:           8
        .value_kind:     global_buffer
      - .address_space:  global
        .offset:         8
        .size:           8
        .value_kind:     global_buffer
      - .address_space:  global
        .offset:         16
        .size:           8
        .value_kind:     global_buffer
      - .address_space:  global
        .offset:         24
        .size:           8
        .value_kind:     global_buffer
      - .address_space:  global
        .offset:         32
        .size:           8
        .value_kind:     global_buffer
    .group_segment_fixed_size: 0
    .kernarg_segment_align: 8
    .kernarg_segment_size: 40
    .language:       OpenCL C
    .language_version:
      - 2
      - 0
    .max_flat_workgroup_size: 1024
    .name:           _Z25ldpc_vnp_kernel_last_iterPKfS0_PiPKcPK9h_element
    .private_segment_fixed_size: 0
    .sgpr_count:     18
    .sgpr_spill_count: 0
    .symbol:         _Z25ldpc_vnp_kernel_last_iterPKfS0_PiPKcPK9h_element.kd
    .uniform_work_group_size: 1
    .uses_dynamic_stack: false
    .vgpr_count:     10
    .vgpr_spill_count: 0
    .wavefront_size: 32
    .workgroup_processor_mode: 1
amdhsa.target:   amdgcn-amd-amdhsa--gfx1100
amdhsa.version:
  - 1
  - 2
...

	.end_amdgpu_metadata
